;; amdgpu-corpus repo=ROCm/rocFFT kind=compiled arch=gfx1201 opt=O3
	.text
	.amdgcn_target "amdgcn-amd-amdhsa--gfx1201"
	.amdhsa_code_object_version 6
	.protected	fft_rtc_fwd_len2500_factors_10_5_10_5_wgs_250_tpt_250_halfLds_dp_op_CI_CI_sbrr_dirReg ; -- Begin function fft_rtc_fwd_len2500_factors_10_5_10_5_wgs_250_tpt_250_halfLds_dp_op_CI_CI_sbrr_dirReg
	.globl	fft_rtc_fwd_len2500_factors_10_5_10_5_wgs_250_tpt_250_halfLds_dp_op_CI_CI_sbrr_dirReg
	.p2align	8
	.type	fft_rtc_fwd_len2500_factors_10_5_10_5_wgs_250_tpt_250_halfLds_dp_op_CI_CI_sbrr_dirReg,@function
fft_rtc_fwd_len2500_factors_10_5_10_5_wgs_250_tpt_250_halfLds_dp_op_CI_CI_sbrr_dirReg: ; @fft_rtc_fwd_len2500_factors_10_5_10_5_wgs_250_tpt_250_halfLds_dp_op_CI_CI_sbrr_dirReg
; %bb.0:
	s_clause 0x2
	s_load_b128 s[12:15], s[0:1], 0x18
	s_load_b128 s[8:11], s[0:1], 0x0
	;; [unrolled: 1-line block ×3, first 2 shown]
	v_mul_u32_u24_e32 v1, 0x107, v0
	v_mov_b32_e32 v4, 0
	v_mov_b32_e32 v5, 0
	s_wait_kmcnt 0x0
	s_load_b64 s[18:19], s[12:13], 0x0
	s_load_b64 s[16:17], s[14:15], 0x0
	v_lshrrev_b32_e32 v2, 16, v1
	v_mov_b32_e32 v1, 0
	v_cmp_lt_u64_e64 s2, s[10:11], 2
	s_delay_alu instid0(VALU_DEP_2) | instskip(NEXT) | instid1(VALU_DEP_2)
	v_dual_mov_b32 v7, v1 :: v_dual_add_nc_u32 v6, ttmp9, v2
	s_and_b32 vcc_lo, exec_lo, s2
	s_cbranch_vccnz .LBB0_8
; %bb.1:
	s_load_b64 s[2:3], s[0:1], 0x10
	v_mov_b32_e32 v4, 0
	v_mov_b32_e32 v5, 0
	s_add_nc_u64 s[20:21], s[14:15], 8
	s_add_nc_u64 s[22:23], s[12:13], 8
	s_mov_b64 s[24:25], 1
	s_delay_alu instid0(VALU_DEP_1)
	v_dual_mov_b32 v49, v5 :: v_dual_mov_b32 v48, v4
	s_wait_kmcnt 0x0
	s_add_nc_u64 s[26:27], s[2:3], 8
	s_mov_b32 s3, 0
.LBB0_2:                                ; =>This Inner Loop Header: Depth=1
	s_load_b64 s[28:29], s[26:27], 0x0
                                        ; implicit-def: $vgpr50_vgpr51
	s_mov_b32 s2, exec_lo
	s_wait_kmcnt 0x0
	v_or_b32_e32 v2, s29, v7
	s_delay_alu instid0(VALU_DEP_1)
	v_cmpx_ne_u64_e32 0, v[1:2]
	s_wait_alu 0xfffe
	s_xor_b32 s30, exec_lo, s2
	s_cbranch_execz .LBB0_4
; %bb.3:                                ;   in Loop: Header=BB0_2 Depth=1
	s_cvt_f32_u32 s2, s28
	s_cvt_f32_u32 s31, s29
	s_sub_nc_u64 s[36:37], 0, s[28:29]
	s_wait_alu 0xfffe
	s_delay_alu instid0(SALU_CYCLE_1) | instskip(SKIP_1) | instid1(SALU_CYCLE_2)
	s_fmamk_f32 s2, s31, 0x4f800000, s2
	s_wait_alu 0xfffe
	v_s_rcp_f32 s2, s2
	s_delay_alu instid0(TRANS32_DEP_1) | instskip(SKIP_1) | instid1(SALU_CYCLE_2)
	s_mul_f32 s2, s2, 0x5f7ffffc
	s_wait_alu 0xfffe
	s_mul_f32 s31, s2, 0x2f800000
	s_wait_alu 0xfffe
	s_delay_alu instid0(SALU_CYCLE_2) | instskip(SKIP_1) | instid1(SALU_CYCLE_2)
	s_trunc_f32 s31, s31
	s_wait_alu 0xfffe
	s_fmamk_f32 s2, s31, 0xcf800000, s2
	s_cvt_u32_f32 s35, s31
	s_wait_alu 0xfffe
	s_delay_alu instid0(SALU_CYCLE_1) | instskip(SKIP_1) | instid1(SALU_CYCLE_2)
	s_cvt_u32_f32 s34, s2
	s_wait_alu 0xfffe
	s_mul_u64 s[38:39], s[36:37], s[34:35]
	s_wait_alu 0xfffe
	s_mul_hi_u32 s41, s34, s39
	s_mul_i32 s40, s34, s39
	s_mul_hi_u32 s2, s34, s38
	s_mul_i32 s33, s35, s38
	s_wait_alu 0xfffe
	s_add_nc_u64 s[40:41], s[2:3], s[40:41]
	s_mul_hi_u32 s31, s35, s38
	s_mul_hi_u32 s42, s35, s39
	s_add_co_u32 s2, s40, s33
	s_wait_alu 0xfffe
	s_add_co_ci_u32 s2, s41, s31
	s_mul_i32 s38, s35, s39
	s_add_co_ci_u32 s39, s42, 0
	s_wait_alu 0xfffe
	s_add_nc_u64 s[38:39], s[2:3], s[38:39]
	s_wait_alu 0xfffe
	v_add_co_u32 v2, s2, s34, s38
	s_delay_alu instid0(VALU_DEP_1) | instskip(SKIP_1) | instid1(VALU_DEP_1)
	s_cmp_lg_u32 s2, 0
	s_add_co_ci_u32 s35, s35, s39
	v_readfirstlane_b32 s34, v2
	s_wait_alu 0xfffe
	s_delay_alu instid0(VALU_DEP_1)
	s_mul_u64 s[36:37], s[36:37], s[34:35]
	s_wait_alu 0xfffe
	s_mul_hi_u32 s39, s34, s37
	s_mul_i32 s38, s34, s37
	s_mul_hi_u32 s2, s34, s36
	s_mul_i32 s33, s35, s36
	s_wait_alu 0xfffe
	s_add_nc_u64 s[38:39], s[2:3], s[38:39]
	s_mul_hi_u32 s31, s35, s36
	s_mul_hi_u32 s34, s35, s37
	s_wait_alu 0xfffe
	s_add_co_u32 s2, s38, s33
	s_add_co_ci_u32 s2, s39, s31
	s_mul_i32 s36, s35, s37
	s_add_co_ci_u32 s37, s34, 0
	s_wait_alu 0xfffe
	s_add_nc_u64 s[36:37], s[2:3], s[36:37]
	s_wait_alu 0xfffe
	v_add_co_u32 v8, s2, v2, s36
	s_delay_alu instid0(VALU_DEP_1) | instskip(SKIP_1) | instid1(VALU_DEP_1)
	s_cmp_lg_u32 s2, 0
	s_add_co_ci_u32 s2, s35, s37
	v_mul_hi_u32 v12, v6, v8
	s_wait_alu 0xfffe
	v_mad_co_u64_u32 v[2:3], null, v6, s2, 0
	v_mad_co_u64_u32 v[8:9], null, v7, v8, 0
	;; [unrolled: 1-line block ×3, first 2 shown]
	s_delay_alu instid0(VALU_DEP_3) | instskip(SKIP_1) | instid1(VALU_DEP_4)
	v_add_co_u32 v2, vcc_lo, v12, v2
	s_wait_alu 0xfffd
	v_add_co_ci_u32_e32 v3, vcc_lo, 0, v3, vcc_lo
	s_delay_alu instid0(VALU_DEP_2) | instskip(SKIP_1) | instid1(VALU_DEP_2)
	v_add_co_u32 v2, vcc_lo, v2, v8
	s_wait_alu 0xfffd
	v_add_co_ci_u32_e32 v2, vcc_lo, v3, v9, vcc_lo
	s_wait_alu 0xfffd
	v_add_co_ci_u32_e32 v3, vcc_lo, 0, v11, vcc_lo
	s_delay_alu instid0(VALU_DEP_2) | instskip(SKIP_1) | instid1(VALU_DEP_2)
	v_add_co_u32 v8, vcc_lo, v2, v10
	s_wait_alu 0xfffd
	v_add_co_ci_u32_e32 v9, vcc_lo, 0, v3, vcc_lo
	s_delay_alu instid0(VALU_DEP_2) | instskip(SKIP_1) | instid1(VALU_DEP_3)
	v_mul_lo_u32 v10, s29, v8
	v_mad_co_u64_u32 v[2:3], null, s28, v8, 0
	v_mul_lo_u32 v11, s28, v9
	s_delay_alu instid0(VALU_DEP_2) | instskip(NEXT) | instid1(VALU_DEP_2)
	v_sub_co_u32 v2, vcc_lo, v6, v2
	v_add3_u32 v3, v3, v11, v10
	s_delay_alu instid0(VALU_DEP_1) | instskip(SKIP_1) | instid1(VALU_DEP_1)
	v_sub_nc_u32_e32 v10, v7, v3
	s_wait_alu 0xfffd
	v_subrev_co_ci_u32_e64 v10, s2, s29, v10, vcc_lo
	v_add_co_u32 v11, s2, v8, 2
	s_wait_alu 0xf1ff
	v_add_co_ci_u32_e64 v12, s2, 0, v9, s2
	v_sub_co_u32 v13, s2, v2, s28
	v_sub_co_ci_u32_e32 v3, vcc_lo, v7, v3, vcc_lo
	s_wait_alu 0xf1ff
	v_subrev_co_ci_u32_e64 v10, s2, 0, v10, s2
	s_delay_alu instid0(VALU_DEP_3) | instskip(NEXT) | instid1(VALU_DEP_3)
	v_cmp_le_u32_e32 vcc_lo, s28, v13
	v_cmp_eq_u32_e64 s2, s29, v3
	s_wait_alu 0xfffd
	v_cndmask_b32_e64 v13, 0, -1, vcc_lo
	v_cmp_le_u32_e32 vcc_lo, s29, v10
	s_wait_alu 0xfffd
	v_cndmask_b32_e64 v14, 0, -1, vcc_lo
	v_cmp_le_u32_e32 vcc_lo, s28, v2
	;; [unrolled: 3-line block ×3, first 2 shown]
	s_wait_alu 0xfffd
	v_cndmask_b32_e64 v15, 0, -1, vcc_lo
	v_cmp_eq_u32_e32 vcc_lo, s29, v10
	s_wait_alu 0xf1ff
	s_delay_alu instid0(VALU_DEP_2)
	v_cndmask_b32_e64 v2, v15, v2, s2
	s_wait_alu 0xfffd
	v_cndmask_b32_e32 v10, v14, v13, vcc_lo
	v_add_co_u32 v13, vcc_lo, v8, 1
	s_wait_alu 0xfffd
	v_add_co_ci_u32_e32 v14, vcc_lo, 0, v9, vcc_lo
	s_delay_alu instid0(VALU_DEP_3) | instskip(SKIP_1) | instid1(VALU_DEP_2)
	v_cmp_ne_u32_e32 vcc_lo, 0, v10
	s_wait_alu 0xfffd
	v_dual_cndmask_b32 v3, v14, v12 :: v_dual_cndmask_b32 v10, v13, v11
	v_cmp_ne_u32_e32 vcc_lo, 0, v2
	s_wait_alu 0xfffd
	s_delay_alu instid0(VALU_DEP_2)
	v_dual_cndmask_b32 v51, v9, v3 :: v_dual_cndmask_b32 v50, v8, v10
.LBB0_4:                                ;   in Loop: Header=BB0_2 Depth=1
	s_wait_alu 0xfffe
	s_and_not1_saveexec_b32 s2, s30
	s_cbranch_execz .LBB0_6
; %bb.5:                                ;   in Loop: Header=BB0_2 Depth=1
	v_cvt_f32_u32_e32 v2, s28
	s_sub_co_i32 s30, 0, s28
	v_mov_b32_e32 v51, v1
	s_delay_alu instid0(VALU_DEP_2) | instskip(NEXT) | instid1(TRANS32_DEP_1)
	v_rcp_iflag_f32_e32 v2, v2
	v_mul_f32_e32 v2, 0x4f7ffffe, v2
	s_delay_alu instid0(VALU_DEP_1) | instskip(SKIP_1) | instid1(VALU_DEP_1)
	v_cvt_u32_f32_e32 v2, v2
	s_wait_alu 0xfffe
	v_mul_lo_u32 v3, s30, v2
	s_delay_alu instid0(VALU_DEP_1) | instskip(NEXT) | instid1(VALU_DEP_1)
	v_mul_hi_u32 v3, v2, v3
	v_add_nc_u32_e32 v2, v2, v3
	s_delay_alu instid0(VALU_DEP_1) | instskip(NEXT) | instid1(VALU_DEP_1)
	v_mul_hi_u32 v2, v6, v2
	v_mul_lo_u32 v3, v2, s28
	v_add_nc_u32_e32 v8, 1, v2
	s_delay_alu instid0(VALU_DEP_2) | instskip(NEXT) | instid1(VALU_DEP_1)
	v_sub_nc_u32_e32 v3, v6, v3
	v_subrev_nc_u32_e32 v9, s28, v3
	v_cmp_le_u32_e32 vcc_lo, s28, v3
	s_wait_alu 0xfffd
	s_delay_alu instid0(VALU_DEP_2) | instskip(NEXT) | instid1(VALU_DEP_1)
	v_dual_cndmask_b32 v3, v3, v9 :: v_dual_cndmask_b32 v2, v2, v8
	v_cmp_le_u32_e32 vcc_lo, s28, v3
	s_delay_alu instid0(VALU_DEP_2) | instskip(SKIP_1) | instid1(VALU_DEP_1)
	v_add_nc_u32_e32 v8, 1, v2
	s_wait_alu 0xfffd
	v_cndmask_b32_e32 v50, v2, v8, vcc_lo
.LBB0_6:                                ;   in Loop: Header=BB0_2 Depth=1
	s_wait_alu 0xfffe
	s_or_b32 exec_lo, exec_lo, s2
	v_mul_lo_u32 v8, v51, s28
	s_delay_alu instid0(VALU_DEP_2)
	v_mul_lo_u32 v9, v50, s29
	s_load_b64 s[30:31], s[22:23], 0x0
	v_mad_co_u64_u32 v[2:3], null, v50, s28, 0
	s_load_b64 s[28:29], s[20:21], 0x0
	s_add_nc_u64 s[24:25], s[24:25], 1
	s_add_nc_u64 s[20:21], s[20:21], 8
	s_wait_alu 0xfffe
	v_cmp_ge_u64_e64 s2, s[24:25], s[10:11]
	s_add_nc_u64 s[22:23], s[22:23], 8
	s_add_nc_u64 s[26:27], s[26:27], 8
	v_add3_u32 v3, v3, v9, v8
	v_sub_co_u32 v2, vcc_lo, v6, v2
	s_wait_alu 0xfffd
	s_delay_alu instid0(VALU_DEP_2) | instskip(SKIP_2) | instid1(VALU_DEP_1)
	v_sub_co_ci_u32_e32 v3, vcc_lo, v7, v3, vcc_lo
	s_and_b32 vcc_lo, exec_lo, s2
	s_wait_kmcnt 0x0
	v_mul_lo_u32 v6, s30, v3
	v_mul_lo_u32 v7, s31, v2
	v_mad_co_u64_u32 v[4:5], null, s30, v2, v[4:5]
	v_mul_lo_u32 v3, s28, v3
	v_mul_lo_u32 v8, s29, v2
	v_mad_co_u64_u32 v[48:49], null, s28, v2, v[48:49]
	s_delay_alu instid0(VALU_DEP_4) | instskip(NEXT) | instid1(VALU_DEP_2)
	v_add3_u32 v5, v7, v5, v6
	v_add3_u32 v49, v8, v49, v3
	s_wait_alu 0xfffe
	s_cbranch_vccnz .LBB0_9
; %bb.7:                                ;   in Loop: Header=BB0_2 Depth=1
	v_dual_mov_b32 v6, v50 :: v_dual_mov_b32 v7, v51
	s_branch .LBB0_2
.LBB0_8:
	v_dual_mov_b32 v49, v5 :: v_dual_mov_b32 v48, v4
	s_delay_alu instid0(VALU_DEP_2)
	v_dual_mov_b32 v51, v7 :: v_dual_mov_b32 v50, v6
.LBB0_9:
	s_load_b64 s[0:1], s[0:1], 0x28
	v_mul_hi_u32 v1, 0x10624de, v0
	s_lshl_b64 s[2:3], s[10:11], 3
                                        ; implicit-def: $vgpr56
                                        ; implicit-def: $vgpr40
	s_wait_kmcnt 0x0
	v_cmp_gt_u64_e32 vcc_lo, s[0:1], v[50:51]
	v_cmp_le_u64_e64 s0, s[0:1], v[50:51]
	s_delay_alu instid0(VALU_DEP_1)
	s_and_saveexec_b32 s1, s0
	s_wait_alu 0xfffe
	s_xor_b32 s0, exec_lo, s1
; %bb.10:
	v_mul_u32_u24_e32 v1, 0xfa, v1
                                        ; implicit-def: $vgpr4_vgpr5
	s_delay_alu instid0(VALU_DEP_1) | instskip(NEXT) | instid1(VALU_DEP_1)
	v_sub_nc_u32_e32 v56, v0, v1
                                        ; implicit-def: $vgpr1
                                        ; implicit-def: $vgpr0
	v_add_nc_u32_e32 v40, 0xfa, v56
; %bb.11:
	s_wait_alu 0xfffe
	s_or_saveexec_b32 s1, s0
	s_add_nc_u64 s[14:15], s[14:15], s[2:3]
                                        ; implicit-def: $vgpr14_vgpr15
                                        ; implicit-def: $vgpr10_vgpr11
                                        ; implicit-def: $vgpr22_vgpr23
                                        ; implicit-def: $vgpr26_vgpr27
                                        ; implicit-def: $vgpr34_vgpr35
                                        ; implicit-def: $vgpr38_vgpr39
                                        ; implicit-def: $vgpr30_vgpr31
                                        ; implicit-def: $vgpr18_vgpr19
                                        ; implicit-def: $vgpr6_vgpr7
                                        ; implicit-def: $vgpr2_vgpr3
	s_wait_alu 0xfffe
	s_xor_b32 exec_lo, exec_lo, s1
	s_cbranch_execz .LBB0_13
; %bb.12:
	v_mul_u32_u24_e32 v1, 0xfa, v1
	s_add_nc_u64 s[2:3], s[12:13], s[2:3]
	v_lshlrev_b64_e32 v[4:5], 4, v[4:5]
	s_load_b64 s[2:3], s[2:3], 0x0
	s_delay_alu instid0(VALU_DEP_2) | instskip(NEXT) | instid1(VALU_DEP_1)
	v_sub_nc_u32_e32 v56, v0, v1
	v_add_nc_u32_e32 v26, 0x5dc, v56
	v_add_nc_u32_e32 v40, 0xfa, v56
	v_mad_co_u64_u32 v[0:1], null, s18, v56, 0
	v_add_nc_u32_e32 v36, 0x8ca, v56
	s_delay_alu instid0(VALU_DEP_4) | instskip(SKIP_2) | instid1(VALU_DEP_4)
	v_mad_co_u64_u32 v[22:23], null, s18, v26, 0
	v_add_nc_u32_e32 v15, 0x1f4, v56
	v_mad_co_u64_u32 v[2:3], null, s18, v40, 0
	v_mad_co_u64_u32 v[32:33], null, s18, v36, 0
	s_delay_alu instid0(VALU_DEP_3)
	v_mad_co_u64_u32 v[6:7], null, s18, v15, 0
	v_add_nc_u32_e32 v16, 0x2ee, v56
	s_wait_kmcnt 0x0
	v_mul_lo_u32 v14, s3, v50
	v_mul_lo_u32 v17, s2, v51
	v_mad_co_u64_u32 v[10:11], null, s2, v50, 0
	v_mad_co_u64_u32 v[12:13], null, s19, v56, v[1:2]
	v_mov_b32_e32 v1, v3
	v_mov_b32_e32 v3, v7
	v_mad_co_u64_u32 v[8:9], null, s18, v16, 0
	v_add3_u32 v11, v11, v17, v14
	s_delay_alu instid0(VALU_DEP_4)
	v_mad_co_u64_u32 v[13:14], null, s19, v40, v[1:2]
	v_add_nc_u32_e32 v18, 0x3e8, v56
	v_mad_co_u64_u32 v[14:15], null, s19, v15, v[3:4]
	v_mov_b32_e32 v7, v9
	v_lshlrev_b64_e32 v[9:10], 4, v[10:11]
	v_mov_b32_e32 v1, v12
	s_delay_alu instid0(VALU_DEP_3) | instskip(SKIP_1) | instid1(VALU_DEP_4)
	v_mad_co_u64_u32 v[11:12], null, s19, v16, v[7:8]
	v_add_nc_u32_e32 v16, 0x4e2, v56
	v_add_co_u32 v9, s0, s4, v9
	s_wait_alu 0xf1ff
	v_add_co_ci_u32_e64 v10, s0, s5, v10, s0
	v_mov_b32_e32 v7, v14
	v_mad_co_u64_u32 v[14:15], null, s18, v18, 0
	v_mov_b32_e32 v3, v13
	v_lshlrev_b64_e32 v[0:1], 4, v[0:1]
	v_add_co_u32 v34, s0, v9, v4
	s_wait_alu 0xf1ff
	v_add_co_ci_u32_e64 v35, s0, v10, v5, s0
	v_lshlrev_b64_e32 v[2:3], 4, v[2:3]
	s_delay_alu instid0(VALU_DEP_3) | instskip(SKIP_3) | instid1(VALU_DEP_4)
	v_add_co_u32 v0, s0, v34, v0
	v_lshlrev_b64_e32 v[12:13], 4, v[6:7]
	s_wait_alu 0xf1ff
	v_add_co_ci_u32_e64 v1, s0, v35, v1, s0
	v_add_co_u32 v4, s0, v34, v2
	v_mov_b32_e32 v9, v11
	v_mad_co_u64_u32 v[20:21], null, s18, v16, 0
	s_wait_alu 0xf1ff
	v_add_co_ci_u32_e64 v5, s0, v35, v3, s0
	v_add_co_u32 v10, s0, v34, v12
	v_mov_b32_e32 v12, v15
	v_lshlrev_b64_e32 v[8:9], 4, v[8:9]
	s_wait_alu 0xf1ff
	v_add_co_ci_u32_e64 v11, s0, v35, v13, s0
	s_clause 0x1
	global_load_b128 v[0:3], v[0:1], off
	global_load_b128 v[4:7], v[4:5], off
	v_mad_co_u64_u32 v[12:13], null, s19, v18, v[12:13]
	v_mov_b32_e32 v13, v21
	v_add_co_u32 v8, s0, v34, v8
	s_wait_alu 0xf1ff
	v_add_co_ci_u32_e64 v9, s0, v35, v9, s0
	s_delay_alu instid0(VALU_DEP_3)
	v_mad_co_u64_u32 v[24:25], null, s19, v16, v[13:14]
	s_clause 0x1
	global_load_b128 v[16:19], v[10:11], off
	global_load_b128 v[28:31], v[8:9], off
	v_add_nc_u32_e32 v11, 0x7d0, v56
	v_dual_mov_b32 v15, v12 :: v_dual_mov_b32 v8, v23
	v_mov_b32_e32 v21, v24
	s_delay_alu instid0(VALU_DEP_3) | instskip(SKIP_1) | instid1(VALU_DEP_4)
	v_mad_co_u64_u32 v[24:25], null, s18, v11, 0
	v_add_nc_u32_e32 v27, 0x6d6, v56
	v_lshlrev_b64_e32 v[9:10], 4, v[14:15]
	s_delay_alu instid0(VALU_DEP_4) | instskip(NEXT) | instid1(VALU_DEP_3)
	v_lshlrev_b64_e32 v[20:21], 4, v[20:21]
	v_mad_co_u64_u32 v[12:13], null, s18, v27, 0
	s_delay_alu instid0(VALU_DEP_3) | instskip(NEXT) | instid1(VALU_DEP_1)
	v_mad_co_u64_u32 v[14:15], null, s19, v26, v[8:9]
	v_dual_mov_b32 v8, v13 :: v_dual_mov_b32 v23, v14
	s_delay_alu instid0(VALU_DEP_1)
	v_mad_co_u64_u32 v[26:27], null, s19, v27, v[8:9]
	v_add_co_u32 v8, s0, v34, v9
	s_wait_alu 0xf1ff
	v_add_co_ci_u32_e64 v9, s0, v35, v10, s0
	v_mov_b32_e32 v10, v25
	v_add_co_u32 v14, s0, v34, v20
	v_mov_b32_e32 v13, v26
	s_wait_alu 0xf1ff
	v_add_co_ci_u32_e64 v15, s0, v35, v21, s0
	v_mad_co_u64_u32 v[10:11], null, s19, v11, v[10:11]
	v_mov_b32_e32 v11, v33
	v_lshlrev_b64_e32 v[20:21], 4, v[22:23]
	s_delay_alu instid0(VALU_DEP_2) | instskip(SKIP_2) | instid1(VALU_DEP_4)
	v_mad_co_u64_u32 v[22:23], null, s19, v36, v[11:12]
	v_lshlrev_b64_e32 v[11:12], 4, v[12:13]
	v_mov_b32_e32 v25, v10
	v_add_co_u32 v20, s0, v34, v20
	s_wait_alu 0xf1ff
	v_add_co_ci_u32_e64 v21, s0, v35, v21, s0
	v_mov_b32_e32 v33, v22
	v_lshlrev_b64_e32 v[23:24], 4, v[24:25]
	v_add_co_u32 v10, s0, v34, v11
	s_wait_alu 0xf1ff
	v_add_co_ci_u32_e64 v11, s0, v35, v12, s0
	v_lshlrev_b64_e32 v[12:13], 4, v[32:33]
	s_delay_alu instid0(VALU_DEP_4) | instskip(SKIP_2) | instid1(VALU_DEP_3)
	v_add_co_u32 v41, s0, v34, v23
	s_wait_alu 0xf1ff
	v_add_co_ci_u32_e64 v42, s0, v35, v24, s0
	v_add_co_u32 v12, s0, v34, v12
	s_wait_alu 0xf1ff
	v_add_co_ci_u32_e64 v13, s0, v35, v13, s0
	s_clause 0x5
	global_load_b128 v[36:39], v[8:9], off
	global_load_b128 v[32:35], v[14:15], off
	;; [unrolled: 1-line block ×6, first 2 shown]
.LBB0_13:
	s_or_b32 exec_lo, exec_lo, s1
	s_wait_loadcnt 0x0
	v_add_f64_e32 v[41:42], v[12:13], v[28:29]
	v_add_f64_e32 v[43:44], v[20:21], v[32:33]
	;; [unrolled: 1-line block ×4, first 2 shown]
	v_add_f64_e64 v[54:55], v[34:35], -v[22:23]
	v_add_f64_e64 v[57:58], v[30:31], -v[14:15]
	;; [unrolled: 1-line block ×8, first 2 shown]
	s_mov_b32 s2, 0x134454ff
	s_mov_b32 s3, 0x3fee6f0e
	;; [unrolled: 1-line block ×3, first 2 shown]
	s_wait_alu 0xfffe
	s_mov_b32 s4, s2
	v_add_f64_e32 v[71:72], v[24:25], v[36:37]
	v_add_f64_e32 v[75:76], v[8:9], v[16:17]
	;; [unrolled: 1-line block ×4, first 2 shown]
	v_add_f64_e64 v[87:88], v[34:35], -v[30:31]
	v_add_f64_e64 v[89:90], v[22:23], -v[14:15]
	;; [unrolled: 1-line block ×3, first 2 shown]
	s_mov_b32 s10, 0x4755a5e
	s_mov_b32 s11, 0x3fe2cf23
	;; [unrolled: 1-line block ×3, first 2 shown]
	s_wait_alu 0xfffe
	s_mov_b32 s12, s10
	v_add_f64_e32 v[83:84], v[16:17], v[0:1]
	v_add_f64_e64 v[91:92], v[18:19], -v[10:11]
	s_mov_b32 s0, 0x372fe950
	s_mov_b32 s1, 0x3fd3c6ef
	;; [unrolled: 1-line block ×4, first 2 shown]
	s_load_b64 s[14:15], s[14:15], 0x0
	v_fma_f64 v[41:42], v[41:42], -0.5, v[4:5]
	v_fma_f64 v[43:44], v[43:44], -0.5, v[4:5]
	;; [unrolled: 1-line block ×4, first 2 shown]
	v_add_f64_e32 v[4:5], v[28:29], v[4:5]
	v_add_f64_e64 v[28:29], v[14:15], -v[22:23]
	v_add_f64_e32 v[6:7], v[30:31], v[6:7]
	v_add_f64_e32 v[59:60], v[61:62], v[59:60]
	v_add_f64_e64 v[30:31], v[16:17], -v[8:9]
	v_add_f64_e32 v[61:62], v[65:66], v[63:64]
	v_fma_f64 v[71:72], v[71:72], -0.5, v[0:1]
	v_fma_f64 v[0:1], v[75:76], -0.5, v[0:1]
	v_fma_f64 v[73:74], v[54:55], s[4:5], v[41:42]
	v_fma_f64 v[41:42], v[54:55], s[2:3], v[41:42]
	;; [unrolled: 1-line block ×8, first 2 shown]
	v_add_f64_e32 v[28:29], v[28:29], v[85:86]
	v_add_f64_e64 v[85:86], v[16:17], -v[36:37]
	v_add_f64_e64 v[16:17], v[36:37], -v[16:17]
	v_add_f64_e32 v[4:5], v[32:33], v[4:5]
	v_add_f64_e32 v[6:7], v[34:35], v[6:7]
	v_fma_f64 v[32:33], v[91:92], s[2:3], v[71:72]
	v_fma_f64 v[71:72], v[91:92], s[4:5], v[71:72]
	;; [unrolled: 1-line block ×6, first 2 shown]
	v_add_f64_e32 v[54:55], v[18:19], v[2:3]
	v_fma_f64 v[77:78], v[79:80], -0.5, v[2:3]
	v_add_f64_e64 v[79:80], v[36:37], -v[24:25]
	v_fma_f64 v[2:3], v[81:82], -0.5, v[2:3]
	v_add_f64_e64 v[57:58], v[38:39], -v[26:27]
	v_add_f64_e32 v[81:82], v[89:90], v[87:88]
	v_fma_f64 v[63:64], v[67:68], s[10:11], v[63:64]
	v_fma_f64 v[65:66], v[69:70], s[10:11], v[65:66]
	v_add_f64_e64 v[87:88], v[8:9], -v[24:25]
	v_add_f64_e32 v[36:37], v[36:37], v[83:84]
	v_fma_f64 v[52:53], v[69:70], s[12:13], v[52:53]
	v_fma_f64 v[45:46], v[67:68], s[12:13], v[45:46]
	v_add_f64_e64 v[89:90], v[24:25], -v[8:9]
	v_add_f64_e32 v[4:5], v[20:21], v[4:5]
	v_add_f64_e32 v[6:7], v[22:23], v[6:7]
	v_fma_f64 v[73:74], v[61:62], s[0:1], v[73:74]
	v_fma_f64 v[41:42], v[61:62], s[0:1], v[41:42]
	;; [unrolled: 1-line block ×4, first 2 shown]
	v_add_f64_e64 v[59:60], v[18:19], -v[38:39]
	v_add_f64_e64 v[18:19], v[38:39], -v[18:19]
	v_add_f64_e64 v[61:62], v[10:11], -v[26:27]
	v_add_f64_e32 v[38:39], v[38:39], v[54:55]
	v_fma_f64 v[34:35], v[30:31], s[4:5], v[77:78]
	v_fma_f64 v[54:55], v[30:31], s[2:3], v[77:78]
	;; [unrolled: 1-line block ×6, first 2 shown]
	v_add_f64_e64 v[75:76], v[26:27], -v[10:11]
	v_fma_f64 v[63:64], v[81:82], s[0:1], v[63:64]
	v_fma_f64 v[65:66], v[28:29], s[0:1], v[65:66]
	v_add_f64_e32 v[83:84], v[87:88], v[85:86]
	v_add_f64_e32 v[24:25], v[24:25], v[36:37]
	v_fma_f64 v[20:21], v[57:58], s[10:11], v[32:33]
	v_fma_f64 v[28:29], v[28:29], s[0:1], v[52:53]
	v_add_f64_e32 v[16:17], v[89:90], v[16:17]
	v_fma_f64 v[32:33], v[57:58], s[12:13], v[71:72]
	v_fma_f64 v[45:46], v[81:82], s[0:1], v[45:46]
	v_add_f64_e32 v[4:5], v[12:13], v[4:5]
	v_add_f64_e32 v[6:7], v[14:15], v[6:7]
	v_mul_f64_e32 v[57:58], s[0:1], v[73:74]
	v_mul_f64_e32 v[52:53], s[18:19], v[67:68]
	;; [unrolled: 1-line block ×3, first 2 shown]
	v_add_f64_e32 v[59:60], v[61:62], v[59:60]
	v_add_f64_e32 v[26:27], v[26:27], v[38:39]
	v_fma_f64 v[22:23], v[79:80], s[12:13], v[34:35]
	v_fma_f64 v[34:35], v[79:80], s[10:11], v[54:55]
	;; [unrolled: 1-line block ×4, first 2 shown]
	v_mul_f64_e32 v[30:31], s[12:13], v[67:68]
	v_fma_f64 v[36:37], v[91:92], s[10:11], v[69:70]
	v_fma_f64 v[0:1], v[91:92], s[12:13], v[0:1]
	v_mul_f64_e32 v[69:70], s[0:1], v[41:42]
	v_add_f64_e32 v[18:19], v[75:76], v[18:19]
	v_mul_f64_e32 v[54:55], s[4:5], v[73:74]
	v_mul_f64_e32 v[61:62], s[0:1], v[63:64]
	;; [unrolled: 1-line block ×3, first 2 shown]
	v_add_f64_e32 v[8:9], v[8:9], v[24:25]
	v_fma_f64 v[12:13], v[83:84], s[0:1], v[20:21]
	v_fma_f64 v[73:74], v[83:84], s[0:1], v[32:33]
	;; [unrolled: 1-line block ×4, first 2 shown]
	v_fma_f64 v[65:66], v[65:66], s[10:11], -v[71:72]
	v_add_f64_e32 v[10:11], v[10:11], v[26:27]
	v_fma_f64 v[14:15], v[59:60], s[0:1], v[22:23]
	v_fma_f64 v[75:76], v[28:29], s[18:19], v[30:31]
	;; [unrolled: 1-line block ×4, first 2 shown]
	v_fma_f64 v[63:64], v[63:64], s[2:3], -v[69:70]
	v_fma_f64 v[38:39], v[18:19], s[0:1], v[38:39]
	v_fma_f64 v[71:72], v[18:19], s[0:1], v[2:3]
	;; [unrolled: 1-line block ×3, first 2 shown]
	v_fma_f64 v[77:78], v[41:42], s[4:5], -v[61:62]
	v_fma_f64 v[69:70], v[59:60], s[0:1], v[34:35]
	v_fma_f64 v[79:80], v[43:44], s[12:13], -v[67:68]
	v_add_f64_e32 v[17:18], v[4:5], v[8:9]
	v_add_f64_e64 v[23:24], v[8:9], -v[4:5]
	v_and_b32_e32 v1, 0xff, v56
	v_mul_u32_u24_e32 v3, 10, v56
	v_and_b32_e32 v5, 0xffff, v40
	s_delay_alu instid0(VALU_DEP_3) | instskip(SKIP_1) | instid1(VALU_DEP_3)
	v_mul_lo_u16 v0, 0xcd, v1
	v_mul_lo_u16 v1, v1, 41
	v_mul_u32_u24_e32 v5, 0xcccd, v5
	s_delay_alu instid0(VALU_DEP_3) | instskip(NEXT) | instid1(VALU_DEP_3)
	v_lshrrev_b16 v2, 11, v0
	v_lshrrev_b16 v1, 11, v1
	s_delay_alu instid0(VALU_DEP_2)
	v_mul_lo_u16 v0, v2, 10
	v_add_f64_e32 v[19:20], v[12:13], v[52:53]
	v_add_f64_e32 v[21:22], v[73:74], v[65:66]
	v_add_f64_e64 v[29:30], v[12:13], -v[52:53]
	v_and_b32_e32 v2, 0xffff, v2
	v_sub_nc_u16 v0, v56, v0
	v_add_f64_e32 v[41:42], v[6:7], v[10:11]
	v_add_f64_e64 v[54:55], v[10:11], -v[6:7]
	v_add_f64_e32 v[43:44], v[14:15], v[75:76]
	v_add_f64_e32 v[25:26], v[32:33], v[57:58]
	v_add_f64_e64 v[31:32], v[32:33], -v[57:58]
	v_add_f64_e32 v[27:28], v[36:37], v[63:64]
	v_add_f64_e64 v[33:34], v[36:37], -v[63:64]
	v_add_f64_e64 v[35:36], v[73:74], -v[65:66]
	v_add_f64_e32 v[59:60], v[38:39], v[45:46]
	v_add_f64_e32 v[61:62], v[71:72], v[77:78]
	v_add_f64_e64 v[63:64], v[14:15], -v[75:76]
	v_add_f64_e32 v[52:53], v[69:70], v[79:80]
	v_add_f64_e64 v[65:66], v[38:39], -v[45:46]
	v_add_f64_e64 v[67:68], v[71:72], -v[77:78]
	v_add_f64_e64 v[69:70], v[69:70], -v[79:80]
	v_lshl_add_u32 v58, v3, 3, 0
	v_and_b32_e32 v3, 0xff, v0
	v_lshl_add_u32 v57, v40, 3, 0
	v_lshrrev_b32_e32 v15, 19, v5
	v_mul_u32_u24_e32 v39, 0x190, v2
	v_mad_i32_i24 v16, 0xffffffb8, v56, v58
	v_lshlrev_b32_e32 v11, 6, v3
	v_lshlrev_b32_e32 v3, 3, v3
	v_mul_lo_u16 v5, v15, 10
	v_mul_u32_u24_e32 v15, 0x190, v15
	v_add_nc_u32_e32 v0, 0xf80, v16
	v_add_nc_u32_e32 v4, 0x1f40, v16
	;; [unrolled: 1-line block ×4, first 2 shown]
	ds_store_b128 v58, v[17:20]
	ds_store_b128 v58, v[25:28] offset:16
	ds_store_b128 v58, v[21:24] offset:32
	ds_store_b128 v58, v[29:32] offset:48
	ds_store_b128 v58, v[33:36] offset:64
	global_wb scope:SCOPE_SE
	s_wait_dscnt 0x0
	s_wait_kmcnt 0x0
	s_barrier_signal -1
	s_barrier_wait -1
	global_inv scope:SCOPE_SE
	ds_load_2addr_b64 v[17:20], v0 offset0:4 offset1:254
	ds_load_2addr_b64 v[21:24], v4 offset1:250
	ds_load_2addr_b64 v[25:28], v8 offset0:4 offset1:254
	ds_load_2addr_b64 v[29:32], v12 offset1:250
	ds_load_b64 v[6:7], v16
	ds_load_b64 v[9:10], v57
	global_wb scope:SCOPE_SE
	s_wait_dscnt 0x0
	s_barrier_signal -1
	s_barrier_wait -1
	global_inv scope:SCOPE_SE
	ds_store_b128 v58, v[41:44]
	ds_store_b128 v58, v[59:62] offset:16
	ds_store_b128 v58, v[52:55] offset:32
	;; [unrolled: 1-line block ×4, first 2 shown]
	global_wb scope:SCOPE_SE
	s_wait_dscnt 0x0
	s_barrier_signal -1
	s_barrier_wait -1
	global_inv scope:SCOPE_SE
	s_clause 0x2
	global_load_b128 v[33:36], v11, s[8:9]
	global_load_b128 v[41:44], v11, s[8:9] offset:16
	global_load_b128 v[52:55], v11, s[8:9] offset:32
	v_sub_nc_u16 v5, v40, v5
	global_load_b128 v[59:62], v11, s[8:9] offset:48
	v_add3_u32 v3, 0, v39, v3
	v_and_b32_e32 v5, 0xffff, v5
	s_delay_alu instid0(VALU_DEP_1)
	v_lshlrev_b32_e32 v11, 6, v5
	s_clause 0x3
	global_load_b128 v[63:66], v11, s[8:9]
	global_load_b128 v[67:70], v11, s[8:9] offset:16
	global_load_b128 v[71:74], v11, s[8:9] offset:32
	;; [unrolled: 1-line block ×3, first 2 shown]
	ds_load_2addr_b64 v[79:82], v0 offset0:4 offset1:254
	v_mul_lo_u16 v11, v1, 50
	v_lshlrev_b32_e32 v5, 3, v5
	v_and_b32_e32 v1, 0xffff, v1
	s_delay_alu instid0(VALU_DEP_3) | instskip(NEXT) | instid1(VALU_DEP_3)
	v_sub_nc_u16 v11, v56, v11
	v_add3_u32 v15, 0, v15, v5
	s_delay_alu instid0(VALU_DEP_3) | instskip(NEXT) | instid1(VALU_DEP_3)
	v_mul_u32_u24_e32 v1, 0xfa0, v1
	v_and_b32_e32 v2, 0xff, v11
	s_delay_alu instid0(VALU_DEP_1) | instskip(SKIP_1) | instid1(VALU_DEP_2)
	v_mul_u32_u24_e32 v11, 9, v2
	v_lshlrev_b32_e32 v2, 3, v2
	v_lshlrev_b32_e32 v11, 4, v11
	s_delay_alu instid0(VALU_DEP_2)
	v_add3_u32 v39, 0, v1, v2
	s_wait_loadcnt_dscnt 0x700
	v_mul_f64_e32 v[13:14], v[79:80], v[35:36]
	v_mul_f64_e32 v[45:46], v[17:18], v[35:36]
	ds_load_2addr_b64 v[35:38], v4 offset1:250
	ds_load_2addr_b64 v[83:86], v8 offset0:4 offset1:254
	s_wait_loadcnt 0x6
	v_mul_f64_e32 v[89:90], v[21:22], v[43:44]
	s_wait_dscnt 0x1
	v_mul_f64_e32 v[87:88], v[35:36], v[43:44]
	s_wait_loadcnt_dscnt 0x500
	v_mul_f64_e32 v[91:92], v[83:84], v[54:55]
	v_mul_f64_e32 v[54:55], v[25:26], v[54:55]
	v_fma_f64 v[13:14], v[17:18], v[33:34], -v[13:14]
	v_fma_f64 v[17:18], v[79:80], v[33:34], v[45:46]
	ds_load_2addr_b64 v[43:46], v12 offset1:250
	v_fma_f64 v[35:36], v[35:36], v[41:42], v[89:90]
	v_fma_f64 v[21:22], v[21:22], v[41:42], -v[87:88]
	s_wait_loadcnt_dscnt 0x400
	v_mul_f64_e32 v[33:34], v[43:44], v[61:62]
	v_mul_f64_e32 v[41:42], v[29:30], v[61:62]
	s_wait_loadcnt 0x3
	v_mul_f64_e32 v[61:62], v[81:82], v[65:66]
	v_fma_f64 v[25:26], v[25:26], v[52:53], -v[91:92]
	v_fma_f64 v[52:53], v[83:84], v[52:53], v[54:55]
	s_wait_loadcnt 0x2
	v_mul_f64_e32 v[54:55], v[37:38], v[69:70]
	v_mul_f64_e32 v[65:66], v[19:20], v[65:66]
	v_add_f64_e32 v[93:94], v[6:7], v[13:14]
	v_fma_f64 v[29:30], v[29:30], v[59:60], -v[33:34]
	v_fma_f64 v[33:34], v[43:44], v[59:60], v[41:42]
	s_wait_loadcnt 0x1
	v_mul_f64_e32 v[41:42], v[85:86], v[73:74]
	s_wait_loadcnt 0x0
	v_mul_f64_e32 v[43:44], v[45:46], v[77:78]
	v_fma_f64 v[19:20], v[19:20], v[63:64], -v[61:62]
	v_mul_f64_e32 v[59:60], v[23:24], v[69:70]
	v_mul_f64_e32 v[61:62], v[27:28], v[73:74]
	v_fma_f64 v[23:24], v[23:24], v[67:68], -v[54:55]
	v_mul_f64_e32 v[54:55], v[31:32], v[77:78]
	v_add_f64_e64 v[69:70], v[17:18], -v[35:36]
	v_add_f64_e64 v[73:74], v[35:36], -v[17:18]
	v_add_f64_e32 v[95:96], v[35:36], v[52:53]
	v_add_f64_e32 v[93:94], v[93:94], v[21:22]
	v_add_f64_e32 v[97:98], v[17:18], v[33:34]
	v_fma_f64 v[27:28], v[27:28], v[71:72], -v[41:42]
	v_fma_f64 v[31:32], v[31:32], v[75:76], -v[43:44]
	v_fma_f64 v[41:42], v[81:82], v[63:64], v[65:66]
	v_fma_f64 v[37:38], v[37:38], v[67:68], v[59:60]
	;; [unrolled: 1-line block ×3, first 2 shown]
	v_add_f64_e64 v[59:60], v[29:30], -v[25:26]
	v_fma_f64 v[45:46], v[45:46], v[75:76], v[54:55]
	v_add_f64_e64 v[54:55], v[13:14], -v[21:22]
	v_add_f64_e32 v[61:62], v[21:22], v[25:26]
	v_add_f64_e32 v[63:64], v[13:14], v[29:30]
	v_add_f64_e64 v[65:66], v[21:22], -v[13:14]
	v_add_f64_e64 v[67:68], v[25:26], -v[29:30]
	;; [unrolled: 1-line block ×8, first 2 shown]
	v_add_f64_e32 v[25:26], v[93:94], v[25:26]
	v_add_f64_e32 v[89:90], v[23:24], v[27:28]
	v_add_f64_e64 v[79:80], v[31:32], -v[27:28]
	v_add_f64_e64 v[83:84], v[27:28], -v[31:32]
	;; [unrolled: 1-line block ×3, first 2 shown]
	v_add_f64_e32 v[91:92], v[19:20], v[31:32]
	v_add_f64_e64 v[87:88], v[45:46], -v[43:44]
	v_add_f64_e32 v[54:55], v[54:55], v[59:60]
	ds_load_b64 v[59:60], v16
	v_fma_f64 v[61:62], v[61:62], -0.5, v[6:7]
	v_fma_f64 v[6:7], v[63:64], -0.5, v[6:7]
	ds_load_b64 v[63:64], v57
	v_add_f64_e32 v[65:66], v[65:66], v[67:68]
	v_add_f64_e32 v[67:68], v[37:38], v[43:44]
	;; [unrolled: 1-line block ×6, first 2 shown]
	v_add_f64_e64 v[19:20], v[19:20], -v[31:32]
	v_add_f64_e32 v[25:26], v[25:26], v[29:30]
	global_wb scope:SCOPE_SE
	s_wait_dscnt 0x0
	s_barrier_signal -1
	s_barrier_wait -1
	global_inv scope:SCOPE_SE
	v_fma_f64 v[95:96], v[95:96], -0.5, v[59:60]
	v_fma_f64 v[89:90], v[89:90], -0.5, v[9:10]
	v_add_f64_e32 v[77:78], v[77:78], v[79:80]
	v_add_f64_e32 v[79:80], v[59:60], v[17:18]
	v_add_f64_e64 v[17:18], v[17:18], -v[33:34]
	v_add_f64_e32 v[81:82], v[81:82], v[83:84]
	v_add_f64_e32 v[83:84], v[63:64], v[41:42]
	;; [unrolled: 1-line block ×3, first 2 shown]
	v_add_f64_e64 v[87:88], v[35:36], -v[52:53]
	v_fma_f64 v[9:10], v[91:92], -0.5, v[9:10]
	v_add_f64_e64 v[91:92], v[41:42], -v[45:46]
	v_fma_f64 v[59:60], v[97:98], -0.5, v[59:60]
	v_add_f64_e64 v[97:98], v[37:38], -v[43:44]
	v_add_f64_e64 v[41:42], v[37:38], -v[41:42]
	v_fma_f64 v[67:68], v[67:68], -0.5, v[63:64]
	v_fma_f64 v[63:64], v[71:72], -0.5, v[63:64]
	v_add_f64_e32 v[75:76], v[75:76], v[23:24]
	v_add_f64_e64 v[23:24], v[23:24], -v[27:28]
	v_add_f64_e32 v[35:36], v[79:80], v[35:36]
	v_fma_f64 v[71:72], v[17:18], s[2:3], v[61:62]
	v_fma_f64 v[61:62], v[17:18], s[4:5], v[61:62]
	v_add_f64_e32 v[37:38], v[83:84], v[37:38]
	v_fma_f64 v[79:80], v[87:88], s[4:5], v[6:7]
	v_fma_f64 v[6:7], v[87:88], s[2:3], v[6:7]
	v_fma_f64 v[83:84], v[91:92], s[2:3], v[89:90]
	v_fma_f64 v[89:90], v[91:92], s[4:5], v[89:90]
	v_fma_f64 v[93:94], v[97:98], s[4:5], v[9:10]
	v_fma_f64 v[9:10], v[97:98], s[2:3], v[9:10]
	v_add_f64_e32 v[27:28], v[75:76], v[27:28]
	v_add_f64_e64 v[75:76], v[43:44], -v[45:46]
	v_add_f64_e32 v[35:36], v[35:36], v[52:53]
	v_fma_f64 v[71:72], v[87:88], s[10:11], v[71:72]
	v_fma_f64 v[61:62], v[87:88], s[12:13], v[61:62]
	;; [unrolled: 1-line block ×16, first 2 shown]
	v_add_f64_e32 v[37:38], v[37:38], v[43:44]
	v_add_f64_e32 v[41:42], v[41:42], v[75:76]
	;; [unrolled: 1-line block ×4, first 2 shown]
	v_fma_f64 v[29:30], v[54:55], s[0:1], v[71:72]
	v_fma_f64 v[31:32], v[54:55], s[0:1], v[61:62]
	;; [unrolled: 1-line block ×15, first 2 shown]
	v_add_f64_e32 v[35:36], v[37:38], v[45:46]
	v_fma_f64 v[63:64], v[81:82], s[0:1], v[93:94]
	ds_store_2addr_b64 v3, v[25:26], v[29:30] offset1:10
	ds_store_2addr_b64 v3, v[54:55], v[6:7] offset0:20 offset1:30
	ds_store_b64 v3, v[31:32] offset:320
	ds_store_2addr_b64 v15, v[27:28], v[61:62] offset1:10
	ds_store_2addr_b64 v15, v[63:64], v[9:10] offset0:20 offset1:30
	ds_store_b64 v15, v[65:66] offset:320
	v_fma_f64 v[37:38], v[69:70], s[0:1], v[43:44]
	v_fma_f64 v[45:46], v[73:74], s[0:1], v[17:18]
	;; [unrolled: 1-line block ×8, first 2 shown]
	global_wb scope:SCOPE_SE
	s_wait_dscnt 0x0
	s_barrier_signal -1
	s_barrier_wait -1
	global_inv scope:SCOPE_SE
	ds_load_b64 v[5:6], v16
	ds_load_b64 v[9:10], v57
	ds_load_2addr_b64 v[17:20], v0 offset0:4 offset1:254
	ds_load_2addr_b64 v[21:24], v4 offset1:250
	ds_load_2addr_b64 v[25:28], v8 offset0:4 offset1:254
	ds_load_2addr_b64 v[29:32], v12 offset1:250
	global_wb scope:SCOPE_SE
	s_wait_dscnt 0x0
	s_barrier_signal -1
	s_barrier_wait -1
	global_inv scope:SCOPE_SE
	ds_store_2addr_b64 v3, v[33:34], v[37:38] offset1:10
	ds_store_2addr_b64 v3, v[45:46], v[13:14] offset0:20 offset1:30
	ds_store_b64 v3, v[43:44] offset:320
	ds_store_2addr_b64 v15, v[35:36], v[52:53] offset1:10
	ds_store_2addr_b64 v15, v[59:60], v[41:42] offset0:20 offset1:30
	ds_store_b64 v15, v[67:68] offset:320
	global_wb scope:SCOPE_SE
	s_wait_dscnt 0x0
	s_barrier_signal -1
	s_barrier_wait -1
	global_inv scope:SCOPE_SE
	s_clause 0x8
	global_load_b128 v[33:36], v11, s[8:9] offset:640
	global_load_b128 v[41:44], v11, s[8:9] offset:672
	;; [unrolled: 1-line block ×9, first 2 shown]
	ds_load_b64 v[13:14], v57
	ds_load_2addr_b64 v[83:86], v0 offset0:4 offset1:254
	ds_load_b64 v[91:92], v16
	s_wait_loadcnt_dscnt 0x802
	v_mul_f64_e32 v[45:46], v[13:14], v[35:36]
	v_mul_f64_e32 v[87:88], v[9:10], v[35:36]
	ds_load_2addr_b64 v[35:38], v4 offset1:250
	s_wait_loadcnt_dscnt 0x702
	v_mul_f64_e32 v[93:94], v[85:86], v[43:44]
	v_mul_f64_e32 v[95:96], v[19:20], v[43:44]
	s_wait_loadcnt_dscnt 0x600
	v_mul_f64_e32 v[97:98], v[37:38], v[54:55]
	v_mul_f64_e32 v[54:55], v[23:24], v[54:55]
	v_fma_f64 v[9:10], v[9:10], v[33:34], -v[45:46]
	v_fma_f64 v[13:14], v[13:14], v[33:34], v[87:88]
	ds_load_2addr_b64 v[43:46], v8 offset0:4 offset1:254
	ds_load_2addr_b64 v[87:90], v12 offset1:250
	v_fma_f64 v[19:20], v[19:20], v[41:42], -v[93:94]
	v_fma_f64 v[33:34], v[85:86], v[41:42], v[95:96]
	global_wb scope:SCOPE_SE
	s_wait_loadcnt_dscnt 0x0
	s_barrier_signal -1
	s_barrier_wait -1
	global_inv scope:SCOPE_SE
	v_mul_f64_e32 v[41:42], v[45:46], v[61:62]
	v_mul_f64_e32 v[61:62], v[27:28], v[61:62]
	v_fma_f64 v[37:38], v[37:38], v[52:53], v[54:55]
	v_mul_f64_e32 v[54:55], v[89:90], v[65:66]
	v_fma_f64 v[23:24], v[23:24], v[52:53], -v[97:98]
	v_mul_f64_e32 v[52:53], v[31:32], v[65:66]
	v_fma_f64 v[27:28], v[27:28], v[59:60], -v[41:42]
	v_fma_f64 v[41:42], v[45:46], v[59:60], v[61:62]
	v_mul_f64_e32 v[45:46], v[35:36], v[69:70]
	v_mul_f64_e32 v[59:60], v[43:44], v[73:74]
	v_fma_f64 v[31:32], v[31:32], v[63:64], -v[54:55]
	v_mul_f64_e32 v[54:55], v[83:84], v[77:78]
	v_mul_f64_e32 v[61:62], v[87:88], v[81:82]
	v_fma_f64 v[52:53], v[89:90], v[63:64], v[52:53]
	v_mul_f64_e32 v[63:64], v[25:26], v[73:74]
	v_add_f64_e64 v[85:86], v[23:24], -v[19:20]
	v_add_f64_e32 v[65:66], v[23:24], v[27:28]
	v_fma_f64 v[45:46], v[21:22], v[67:68], -v[45:46]
	v_mul_f64_e32 v[21:22], v[21:22], v[69:70]
	v_fma_f64 v[25:26], v[25:26], v[71:72], -v[59:60]
	v_mul_f64_e32 v[59:60], v[17:18], v[77:78]
	;; [unrolled: 2-line block ×3, first 2 shown]
	v_fma_f64 v[29:30], v[29:30], v[79:80], -v[61:62]
	v_add_f64_e32 v[61:62], v[37:38], v[41:42]
	v_add_f64_e32 v[69:70], v[33:34], v[52:53]
	;; [unrolled: 1-line block ×3, first 2 shown]
	v_add_f64_e64 v[77:78], v[19:20], -v[31:32]
	v_add_f64_e64 v[81:82], v[23:24], -v[27:28]
	v_fma_f64 v[43:44], v[43:44], v[71:72], v[63:64]
	v_add_f64_e64 v[63:64], v[19:20], -v[23:24]
	v_add_f64_e64 v[71:72], v[31:32], -v[27:28]
	;; [unrolled: 1-line block ×3, first 2 shown]
	v_fma_f64 v[65:66], v[65:66], -0.5, v[9:10]
	v_fma_f64 v[21:22], v[35:36], v[67:68], v[21:22]
	v_add_f64_e64 v[35:36], v[33:34], -v[52:53]
	v_add_f64_e64 v[67:68], v[37:38], -v[41:42]
	v_fma_f64 v[59:60], v[83:84], v[75:76], v[59:60]
	v_fma_f64 v[54:55], v[87:88], v[79:80], v[54:55]
	v_add_f64_e64 v[75:76], v[33:34], -v[37:38]
	v_fma_f64 v[61:62], v[61:62], -0.5, v[13:14]
	v_fma_f64 v[69:70], v[69:70], -0.5, v[13:14]
	;; [unrolled: 1-line block ×3, first 2 shown]
	v_add_f64_e64 v[79:80], v[52:53], -v[41:42]
	v_add_f64_e64 v[83:84], v[37:38], -v[33:34]
	;; [unrolled: 1-line block ×3, first 2 shown]
	v_add_f64_e32 v[93:94], v[45:46], v[25:26]
	v_add_f64_e32 v[95:96], v[17:18], v[29:30]
	;; [unrolled: 1-line block ×7, first 2 shown]
	v_fma_f64 v[97:98], v[35:36], s[2:3], v[65:66]
	v_fma_f64 v[65:66], v[35:36], s[4:5], v[65:66]
	v_add_f64_e32 v[89:90], v[59:60], v[54:55]
	v_fma_f64 v[19:20], v[77:78], s[4:5], v[61:62]
	v_fma_f64 v[33:34], v[81:82], s[2:3], v[69:70]
	;; [unrolled: 1-line block ×6, first 2 shown]
	v_add_f64_e32 v[75:76], v[75:76], v[79:80]
	v_add_f64_e32 v[79:80], v[91:92], v[59:60]
	;; [unrolled: 1-line block ×4, first 2 shown]
	v_fma_f64 v[93:94], v[93:94], -0.5, v[5:6]
	v_fma_f64 v[5:6], v[95:96], -0.5, v[5:6]
	v_add_f64_e64 v[95:96], v[59:60], -v[54:55]
	v_add_f64_e32 v[9:10], v[9:10], v[23:24]
	v_add_f64_e64 v[23:24], v[25:26], -v[29:30]
	v_add_f64_e32 v[13:14], v[13:14], v[37:38]
	v_add_f64_e64 v[37:38], v[59:60], -v[21:22]
	v_add_f64_e64 v[59:60], v[21:22], -v[59:60]
	v_fma_f64 v[71:72], v[71:72], -0.5, v[91:92]
	v_fma_f64 v[97:98], v[67:68], s[10:11], v[97:98]
	v_fma_f64 v[65:66], v[67:68], s[12:13], v[65:66]
	v_add_f64_e64 v[67:68], v[21:22], -v[43:44]
	v_fma_f64 v[19:20], v[81:82], s[12:13], v[19:20]
	v_fma_f64 v[33:34], v[77:78], s[12:13], v[33:34]
	;; [unrolled: 1-line block ×4, first 2 shown]
	v_add_f64_e64 v[73:74], v[17:18], -v[29:30]
	v_fma_f64 v[61:62], v[81:82], s[10:11], v[61:62]
	v_add_f64_e64 v[81:82], v[45:46], -v[25:26]
	v_fma_f64 v[69:70], v[77:78], s[10:11], v[69:70]
	v_fma_f64 v[77:78], v[89:90], -0.5, v[91:92]
	v_add_f64_e64 v[89:90], v[17:18], -v[45:46]
	v_add_f64_e64 v[91:92], v[29:30], -v[25:26]
	;; [unrolled: 1-line block ×3, first 2 shown]
	v_add_f64_e32 v[45:46], v[87:88], v[45:46]
	v_add_f64_e32 v[21:22], v[79:80], v[21:22]
	v_fma_f64 v[79:80], v[95:96], s[2:3], v[93:94]
	v_fma_f64 v[87:88], v[95:96], s[4:5], v[93:94]
	v_add_f64_e32 v[9:10], v[9:10], v[27:28]
	v_add_f64_e32 v[13:14], v[13:14], v[41:42]
	v_fma_f64 v[65:66], v[63:64], s[0:1], v[65:66]
	v_fma_f64 v[93:94], v[67:68], s[4:5], v[5:6]
	;; [unrolled: 1-line block ×7, first 2 shown]
	v_add_f64_e64 v[97:98], v[54:55], -v[43:44]
	v_fma_f64 v[35:36], v[85:86], s[0:1], v[35:36]
	v_fma_f64 v[61:62], v[75:76], s[0:1], v[61:62]
	;; [unrolled: 1-line block ×3, first 2 shown]
	v_add_f64_e64 v[85:86], v[43:44], -v[54:55]
	v_fma_f64 v[71:72], v[73:74], s[2:3], v[71:72]
	v_fma_f64 v[69:70], v[83:84], s[0:1], v[69:70]
	;; [unrolled: 1-line block ×4, first 2 shown]
	v_add_f64_e32 v[89:90], v[89:90], v[91:92]
	v_add_f64_e32 v[17:18], v[17:18], v[23:24]
	;; [unrolled: 1-line block ×3, first 2 shown]
	v_fma_f64 v[25:26], v[67:68], s[10:11], v[79:80]
	v_fma_f64 v[27:28], v[67:68], s[12:13], v[87:88]
	v_add_f64_e32 v[21:22], v[21:22], v[43:44]
	v_add_f64_e32 v[9:10], v[9:10], v[31:32]
	;; [unrolled: 1-line block ×3, first 2 shown]
	v_mul_f64_e32 v[91:92], s[18:19], v[65:66]
	v_fma_f64 v[45:46], v[95:96], s[10:11], v[93:94]
	v_fma_f64 v[5:6], v[95:96], s[12:13], v[5:6]
	v_mul_f64_e32 v[67:68], s[10:11], v[19:20]
	v_mul_f64_e32 v[79:80], s[2:3], v[33:34]
	;; [unrolled: 1-line block ×3, first 2 shown]
	v_add_f64_e32 v[37:38], v[37:38], v[97:98]
	v_fma_f64 v[41:42], v[81:82], s[12:13], v[75:76]
	v_mul_f64_e32 v[75:76], s[12:13], v[63:64]
	v_add_f64_e32 v[59:60], v[59:60], v[85:86]
	v_fma_f64 v[43:44], v[81:82], s[10:11], v[71:72]
	v_fma_f64 v[71:72], v[73:74], s[12:13], v[83:84]
	;; [unrolled: 1-line block ×3, first 2 shown]
	v_mul_f64_e32 v[77:78], s[4:5], v[35:36]
	v_mul_f64_e32 v[81:82], s[0:1], v[69:70]
	;; [unrolled: 1-line block ×3, first 2 shown]
	v_add_f64_e32 v[23:24], v[23:24], v[29:30]
	v_fma_f64 v[25:26], v[89:90], s[0:1], v[25:26]
	v_fma_f64 v[27:28], v[89:90], s[0:1], v[27:28]
	v_add_f64_e32 v[21:22], v[21:22], v[54:55]
	v_fma_f64 v[29:30], v[17:18], s[0:1], v[45:46]
	v_fma_f64 v[5:6], v[17:18], s[0:1], v[5:6]
	v_fma_f64 v[45:46], v[61:62], s[10:11], -v[91:92]
	v_fma_f64 v[17:18], v[63:64], s[18:19], v[67:68]
	v_fma_f64 v[31:32], v[35:36], s[0:1], v[79:80]
	v_fma_f64 v[35:36], v[69:70], s[2:3], -v[87:88]
	v_fma_f64 v[41:42], v[37:38], s[0:1], v[41:42]
	v_fma_f64 v[19:20], v[19:20], s[18:19], v[75:76]
	;; [unrolled: 1-line block ×6, first 2 shown]
	v_fma_f64 v[54:55], v[99:100], s[4:5], -v[81:82]
	v_fma_f64 v[59:60], v[65:66], s[12:13], -v[83:84]
	v_add_f64_e32 v[61:62], v[23:24], v[9:10]
	v_add_f64_e64 v[9:10], v[23:24], -v[9:10]
	v_add_f64_e32 v[67:68], v[27:28], v[45:46]
	v_add_f64_e32 v[23:24], v[25:26], v[17:18]
	;; [unrolled: 1-line block ×4, first 2 shown]
	v_add_f64_e64 v[17:18], v[25:26], -v[17:18]
	v_add_f64_e64 v[25:26], v[29:30], -v[31:32]
	;; [unrolled: 1-line block ×4, first 2 shown]
	v_add_f64_e32 v[29:30], v[21:22], v[13:14]
	v_add_f64_e32 v[31:32], v[41:42], v[19:20]
	v_add_f64_e64 v[21:22], v[21:22], -v[13:14]
	v_add_f64_e64 v[19:20], v[41:42], -v[19:20]
	v_add_f64_e32 v[35:36], v[43:44], v[33:34]
	v_add_f64_e32 v[45:46], v[52:53], v[54:55]
	;; [unrolled: 1-line block ×3, first 2 shown]
	v_add_f64_e64 v[33:34], v[43:44], -v[33:34]
	v_add_f64_e64 v[41:42], v[52:53], -v[54:55]
	v_add_f64_e64 v[37:38], v[37:38], -v[59:60]
	v_add_nc_u32_e32 v43, 0x800, v39
	ds_store_2addr_b64 v39, v[61:62], v[23:24] offset1:50
	ds_store_2addr_b64 v39, v[63:64], v[65:66] offset0:100 offset1:150
	ds_store_2addr_b64 v39, v[67:68], v[9:10] offset0:200 offset1:250
	;; [unrolled: 1-line block ×4, first 2 shown]
	global_wb scope:SCOPE_SE
	s_wait_dscnt 0x0
	s_barrier_signal -1
	s_barrier_wait -1
	global_inv scope:SCOPE_SE
	ds_load_2addr_b64 v[0:3], v0 offset0:4 offset1:254
	ds_load_2addr_b64 v[4:7], v4 offset1:250
	ds_load_2addr_b64 v[8:11], v8 offset0:4 offset1:254
	ds_load_2addr_b64 v[12:15], v12 offset1:250
	ds_load_b64 v[52:53], v16
	ds_load_b64 v[54:55], v57
	global_wb scope:SCOPE_SE
	s_wait_dscnt 0x0
	s_barrier_signal -1
	s_barrier_wait -1
	global_inv scope:SCOPE_SE
	ds_store_2addr_b64 v39, v[29:30], v[31:32] offset1:50
	ds_store_2addr_b64 v39, v[35:36], v[45:46] offset0:100 offset1:150
	ds_store_2addr_b64 v39, v[69:70], v[21:22] offset0:200 offset1:250
	ds_store_2addr_b64 v43, v[19:20], v[33:34] offset0:44 offset1:94
	ds_store_2addr_b64 v43, v[41:42], v[37:38] offset0:144 offset1:194
	global_wb scope:SCOPE_SE
	s_wait_dscnt 0x0
	s_barrier_signal -1
	s_barrier_wait -1
	global_inv scope:SCOPE_SE
	s_and_saveexec_b32 s18, vcc_lo
	s_cbranch_execz .LBB0_15
; %bb.14:
	v_dual_mov_b32 v17, 0 :: v_dual_lshlrev_b32 v16, 2, v40
	v_mul_hi_u32 v76, 0x10624dd3, v56
	v_mul_lo_u32 v75, s15, v50
	v_mul_lo_u32 v51, s14, v51
	v_mad_co_u64_u32 v[71:72], null, s14, v50, 0
	v_lshlrev_b64_e32 v[18:19], 4, v[16:17]
	v_lshlrev_b32_e32 v16, 2, v56
	v_mul_i32_i24_e32 v59, 0xffffffb8, v56
	v_lshrrev_b32_e32 v78, 5, v76
	v_add_nc_u32_e32 v85, 0xfa, v56
	v_lshlrev_b64_e32 v[73:74], 4, v[48:49]
	v_add_co_u32 v18, vcc_lo, s8, v18
	s_wait_alu 0xfffd
	v_add_co_ci_u32_e32 v19, vcc_lo, s9, v19, vcc_lo
	v_lshlrev_b64_e32 v[16:17], 4, v[16:17]
	v_mul_u32_u24_e32 v79, 0x1f4, v78
	v_add3_u32 v72, v72, v51, v75
	s_clause 0x3
	global_load_b128 v[32:35], v[18:19], off offset:7840
	global_load_b128 v[44:47], v[18:19], off offset:7888
	;; [unrolled: 1-line block ×4, first 2 shown]
	v_add_co_u32 v24, vcc_lo, s8, v16
	s_wait_alu 0xfffd
	v_add_co_ci_u32_e32 v25, vcc_lo, s9, v17, vcc_lo
	s_clause 0x3
	global_load_b128 v[20:23], v[24:25], off offset:7840
	global_load_b128 v[16:19], v[24:25], off offset:7888
	;; [unrolled: 1-line block ×4, first 2 shown]
	v_sub_nc_u32_e32 v56, v56, v79
	v_lshlrev_b64_e32 v[71:72], 4, v[71:72]
	v_add_nc_u32_e32 v58, v58, v59
	s_delay_alu instid0(VALU_DEP_3) | instskip(NEXT) | instid1(VALU_DEP_3)
	v_add_nc_u32_e32 v96, 0x3e8, v56
	v_add_co_u32 v89, vcc_lo, s6, v71
	s_wait_alu 0xfffd
	s_delay_alu instid0(VALU_DEP_4)
	v_add_co_ci_u32_e32 v90, vcc_lo, s7, v72, vcc_lo
	v_mad_co_u64_u32 v[71:72], null, s16, v56, 0
	v_add_nc_u32_e32 v59, 0xf80, v58
	v_mad_co_u64_u32 v[91:92], null, s16, v96, 0
	v_add_nc_u32_e32 v63, 0x3e80, v58
	v_add_nc_u32_e32 v50, 0x1f40, v58
	ds_load_2addr_b64 v[59:62], v59 offset0:4 offset1:254
	ds_load_2addr_b64 v[63:66], v63 offset1:250
	ds_load_2addr_b64 v[67:70], v50 offset1:250
	v_add_nc_u32_e32 v48, 0x2ec0, v58
	ds_load_b64 v[75:76], v57
	ds_load_b64 v[57:58], v58
	ds_load_2addr_b64 v[48:51], v48 offset0:4 offset1:254
	v_add_co_u32 v114, vcc_lo, v89, v73
	s_wait_alu 0xfffd
	v_add_co_ci_u32_e32 v115, vcc_lo, v90, v74, vcc_lo
	s_wait_loadcnt 0x6
	v_mul_f64_e32 v[79:80], v[14:15], v[46:47]
	s_wait_dscnt 0x4
	v_mul_f64_e32 v[46:47], v[65:66], v[46:47]
	s_wait_loadcnt 0x5
	v_mul_f64_e32 v[81:82], v[6:7], v[42:43]
	s_wait_dscnt 0x3
	v_mul_f64_e32 v[42:43], v[69:70], v[42:43]
	;; [unrolled: 4-line block ×3, first 2 shown]
	s_wait_loadcnt 0x2
	v_mul_f64_e32 v[87:88], v[12:13], v[18:19]
	s_wait_loadcnt 0x1
	v_mul_f64_e32 v[89:90], v[4:5], v[30:31]
	v_mul_f64_e32 v[18:19], v[63:64], v[18:19]
	;; [unrolled: 1-line block ×3, first 2 shown]
	v_fma_f64 v[14:15], v[14:15], v[44:45], -v[46:47]
	v_mov_b32_e32 v46, v72
	v_fma_f64 v[6:7], v[6:7], v[40:41], -v[42:43]
	v_fma_f64 v[42:43], v[50:51], v[36:37], v[83:84]
	v_fma_f64 v[10:11], v[10:11], v[36:37], -v[38:39]
	s_delay_alu instid0(VALU_DEP_4)
	v_mad_co_u64_u32 v[36:37], null, s17, v56, v[46:47]
	v_fma_f64 v[50:51], v[63:64], v[16:17], v[87:88]
	v_fma_f64 v[63:64], v[67:68], v[28:29], v[89:90]
	v_fma_f64 v[12:13], v[12:13], v[16:17], -v[18:19]
	v_mov_b32_e32 v46, v92
	v_fma_f64 v[4:5], v[4:5], v[28:29], -v[30:31]
	v_mov_b32_e32 v72, v36
	v_mul_hi_u32 v77, 0x10624dd3, v85
	s_delay_alu instid0(VALU_DEP_1) | instskip(SKIP_2) | instid1(VALU_DEP_3)
	v_lshrrev_b32_e32 v93, 5, v77
	v_mul_f64_e32 v[77:78], v[2:3], v[34:35]
	v_mul_f64_e32 v[34:35], v[61:62], v[34:35]
	v_mul_u32_u24_e32 v86, 0x1f4, v93
	s_delay_alu instid0(VALU_DEP_1) | instskip(SKIP_2) | instid1(VALU_DEP_3)
	v_sub_nc_u32_e32 v94, v85, v86
	v_mul_f64_e32 v[85:86], v[0:1], v[22:23]
	v_mul_f64_e32 v[22:23], v[59:60], v[22:23]
	v_mad_u32_u24 v99, 0x9c4, v93, v94
	s_wait_loadcnt 0x0
	v_mul_f64_e32 v[93:94], v[8:9], v[26:27]
	v_mul_f64_e32 v[26:27], v[48:49], v[26:27]
	v_add_f64_e32 v[89:90], v[6:7], v[10:11]
	v_add_nc_u32_e32 v101, 0x3e8, v99
	v_add_f64_e64 v[104:105], v[14:15], -v[10:11]
	s_delay_alu instid0(VALU_DEP_2) | instskip(SKIP_1) | instid1(VALU_DEP_1)
	v_mad_co_u64_u32 v[67:68], null, s16, v101, 0
	v_add_nc_u32_e32 v95, 0x1f4, v56
	v_mad_co_u64_u32 v[73:74], null, s16, v95, 0
	v_fma_f64 v[61:62], v[61:62], v[32:33], v[77:78]
	v_fma_f64 v[2:3], v[2:3], v[32:33], -v[34:35]
	v_fma_f64 v[34:35], v[65:66], v[44:45], v[79:80]
	s_delay_alu instid0(VALU_DEP_4)
	v_mov_b32_e32 v37, v74
	v_fma_f64 v[65:66], v[69:70], v[40:41], v[81:82]
	v_mad_co_u64_u32 v[40:41], null, s16, v99, 0
	v_fma_f64 v[38:39], v[59:60], v[20:21], v[85:86]
	v_fma_f64 v[0:1], v[0:1], v[20:21], -v[22:23]
	v_add_f64_e64 v[85:86], v[10:11], -v[14:15]
	v_fma_f64 v[47:48], v[48:49], v[24:25], v[93:94]
	v_fma_f64 v[8:9], v[8:9], v[24:25], -v[26:27]
	v_add_f64_e32 v[93:94], v[61:62], v[75:76]
	v_add_f64_e32 v[23:24], v[54:55], v[2:3]
	;; [unrolled: 1-line block ×3, first 2 shown]
	v_add_f64_e64 v[83:84], v[6:7], -v[2:3]
	v_add_f64_e32 v[81:82], v[65:66], v[42:43]
	v_add_f64_e32 v[87:88], v[2:3], v[14:15]
	v_add_f64_e64 v[25:26], v[65:66], -v[61:62]
	v_add_f64_e64 v[27:28], v[42:43], -v[34:35]
	;; [unrolled: 1-line block ×3, first 2 shown]
	v_mad_co_u64_u32 v[16:17], null, s17, v95, v[37:38]
	v_add_nc_u32_e32 v97, 0x5dc, v56
	v_add_f64_e64 v[36:37], v[34:35], -v[42:43]
	v_add_f64_e64 v[106:107], v[63:64], -v[38:39]
	v_mad_co_u64_u32 v[17:18], null, s17, v96, v[46:47]
	v_add_f64_e32 v[95:96], v[63:64], v[47:48]
	v_mov_b32_e32 v74, v16
	v_mad_co_u64_u32 v[32:33], null, s16, v97, 0
	v_add_f64_e64 v[108:109], v[47:48], -v[50:51]
	v_add_f64_e64 v[110:111], v[38:39], -v[63:64]
	v_mov_b32_e32 v92, v17
	v_add_f64_e32 v[16:17], v[38:39], v[50:51]
	v_add_f64_e64 v[112:113], v[50:51], -v[47:48]
	v_mad_co_u64_u32 v[18:19], null, s17, v97, v[33:34]
	v_dual_mov_b32 v19, v41 :: v_dual_add_nc_u32 v98, 0x7d0, v56
	s_delay_alu instid0(VALU_DEP_2) | instskip(NEXT) | instid1(VALU_DEP_2)
	v_mov_b32_e32 v33, v18
	v_mad_co_u64_u32 v[44:45], null, s16, v98, 0
	v_add_f64_e32 v[93:94], v[65:66], v[93:94]
	v_add_f64_e64 v[65:66], v[65:66], -v[42:43]
	s_delay_alu instid0(VALU_DEP_3)
	v_mad_co_u64_u32 v[20:21], null, s17, v98, v[45:46]
	v_add_nc_u32_e32 v100, 0x1f4, v99
	v_add_f64_e32 v[97:98], v[0:1], v[12:13]
	v_add_f64_e32 v[25:26], v[25:26], v[27:28]
	v_add_f64_e64 v[27:28], v[8:9], -v[12:13]
	v_add_f64_e32 v[36:37], v[29:30], v[36:37]
	v_mov_b32_e32 v45, v20
	v_mad_co_u64_u32 v[59:60], null, s16, v100, 0
	v_mad_co_u64_u32 v[21:22], null, s17, v99, v[19:20]
	v_add_nc_u32_e32 v102, 0x5dc, v99
	v_mov_b32_e32 v22, v68
	v_add_f64_e64 v[29:30], v[0:1], -v[4:5]
	v_add_f64_e32 v[106:107], v[106:107], v[108:109]
	v_mov_b32_e32 v19, v60
	v_mad_co_u64_u32 v[69:70], null, s16, v102, 0
	v_fma_f64 v[16:17], v[16:17], -0.5, v[57:58]
	v_add_f64_e64 v[60:61], v[61:62], -v[34:35]
	s_delay_alu instid0(VALU_DEP_4)
	v_mad_co_u64_u32 v[18:19], null, s17, v100, v[19:20]
	v_add_f64_e32 v[19:20], v[4:5], v[8:9]
	v_add_nc_u32_e32 v103, 0x7d0, v99
	v_mov_b32_e32 v31, v70
	v_mad_co_u64_u32 v[99:100], null, s17, v101, v[22:23]
	v_add_f64_e32 v[108:109], v[110:111], v[112:113]
	s_delay_alu instid0(VALU_DEP_4) | instskip(NEXT) | instid1(VALU_DEP_4)
	v_mad_co_u64_u32 v[77:78], null, s16, v103, 0
	v_mad_co_u64_u32 v[100:101], null, s17, v102, v[31:32]
	v_lshlrev_b64_e32 v[70:71], 4, v[71:72]
	v_lshlrev_b64_e32 v[72:73], 4, v[73:74]
	;; [unrolled: 1-line block ×4, first 2 shown]
	v_mov_b32_e32 v41, v78
	v_fma_f64 v[78:79], v[79:80], -0.5, v[75:76]
	v_fma_f64 v[75:76], v[81:82], -0.5, v[75:76]
	v_add_f64_e32 v[82:83], v[83:84], v[85:86]
	v_add_f64_e32 v[84:85], v[38:39], v[57:58]
	v_mad_co_u64_u32 v[101:102], null, s17, v103, v[41:42]
	v_mov_b32_e32 v41, v21
	v_add_f64_e64 v[21:22], v[2:3], -v[6:7]
	v_fma_f64 v[86:87], v[87:88], -0.5, v[54:55]
	v_fma_f64 v[54:55], v[89:90], -0.5, v[54:55]
	v_add_f64_e32 v[88:89], v[52:53], v[0:1]
	v_add_f64_e64 v[102:103], v[6:7], -v[10:11]
	v_add_f64_e32 v[6:7], v[6:7], v[23:24]
	v_add_f64_e64 v[23:24], v[4:5], -v[0:1]
	v_add_f64_e64 v[80:81], v[12:13], -v[8:9]
	;; [unrolled: 1-line block ×3, first 2 shown]
	v_fma_f64 v[56:57], v[95:96], -0.5, v[57:58]
	v_add_f64_e64 v[0:1], v[0:1], -v[12:13]
	v_add_f64_e64 v[38:39], v[38:39], -v[50:51]
	;; [unrolled: 1-line block ×3, first 2 shown]
	v_lshlrev_b64_e32 v[90:91], 4, v[91:92]
	v_lshlrev_b64_e32 v[40:41], 4, v[40:41]
	v_mov_b32_e32 v68, v99
	v_fma_f64 v[19:20], v[19:20], -0.5, v[52:53]
	v_fma_f64 v[52:53], v[97:98], -0.5, v[52:53]
	v_add_f64_e64 v[97:98], v[63:64], -v[47:48]
	v_add_f64_e32 v[104:105], v[21:22], v[104:105]
	v_add_f64_e32 v[21:22], v[63:64], v[84:85]
	v_fma_f64 v[112:113], v[60:61], s[4:5], v[54:55]
	v_add_f64_e32 v[4:5], v[4:5], v[88:89]
	v_fma_f64 v[54:55], v[60:61], s[2:3], v[54:55]
	v_add_f64_e32 v[6:7], v[6:7], v[10:11]
	v_add_f64_e32 v[110:111], v[23:24], v[27:28]
	;; [unrolled: 1-line block ×4, first 2 shown]
	v_fma_f64 v[27:28], v[102:103], s[4:5], v[78:79]
	v_fma_f64 v[29:30], v[102:103], s[2:3], v[78:79]
	;; [unrolled: 1-line block ×14, first 2 shown]
	v_add_f64_e32 v[10:11], v[47:48], v[21:22]
	v_add_f64_e32 v[4:5], v[4:5], v[8:9]
	v_fma_f64 v[54:55], v[65:66], s[10:11], v[54:55]
	v_fma_f64 v[8:9], v[2:3], s[10:11], v[27:28]
	;; [unrolled: 1-line block ×7, first 2 shown]
	v_mov_b32_e32 v60, v18
	v_fma_f64 v[29:30], v[95:96], s[12:13], v[84:85]
	v_fma_f64 v[61:62], v[97:98], s[10:11], v[86:87]
	;; [unrolled: 1-line block ×9, first 2 shown]
	v_add_co_u32 v65, vcc_lo, v114, v70
	s_wait_alu 0xfffd
	v_add_co_ci_u32_e32 v66, vcc_lo, v115, v71, vcc_lo
	v_add_co_u32 v71, vcc_lo, v114, v72
	s_wait_alu 0xfffd
	v_add_co_ci_u32_e32 v72, vcc_lo, v115, v73, vcc_lo
	v_add_co_u32 v86, vcc_lo, v114, v90
	v_add_f64_e32 v[0:1], v[6:7], v[14:15]
	s_wait_alu 0xfffd
	v_add_co_ci_u32_e32 v87, vcc_lo, v115, v91, vcc_lo
	v_add_f64_e32 v[2:3], v[34:35], v[23:24]
	v_add_f64_e32 v[6:7], v[50:51], v[10:11]
	v_add_co_u32 v88, vcc_lo, v114, v31
	v_add_f64_e32 v[4:5], v[4:5], v[12:13]
	s_wait_alu 0xfffd
	v_add_co_ci_u32_e32 v89, vcc_lo, v115, v32, vcc_lo
	v_mov_b32_e32 v70, v100
	v_mov_b32_e32 v78, v101
	v_fma_f64 v[10:11], v[25:26], s[0:1], v[8:9]
	v_fma_f64 v[14:15], v[25:26], s[0:1], v[21:22]
	;; [unrolled: 1-line block ×5, first 2 shown]
	v_lshlrev_b64_e32 v[46:47], 4, v[67:68]
	v_fma_f64 v[22:23], v[108:109], s[0:1], v[29:30]
	v_fma_f64 v[20:21], v[80:81], s[0:1], v[61:62]
	;; [unrolled: 1-line block ×11, first 2 shown]
	v_add_co_u32 v42, vcc_lo, v114, v44
	s_wait_alu 0xfffd
	v_add_co_ci_u32_e32 v43, vcc_lo, v115, v45, vcc_lo
	v_lshlrev_b64_e32 v[44:45], 4, v[59:60]
	v_add_co_u32 v40, vcc_lo, v114, v40
	s_wait_alu 0xfffd
	v_add_co_ci_u32_e32 v41, vcc_lo, v115, v41, vcc_lo
	v_lshlrev_b64_e32 v[48:49], 4, v[69:70]
	s_delay_alu instid0(VALU_DEP_4)
	v_add_co_u32 v44, vcc_lo, v114, v44
	s_wait_alu 0xfffd
	v_add_co_ci_u32_e32 v45, vcc_lo, v115, v45, vcc_lo
	v_lshlrev_b64_e32 v[50:51], 4, v[77:78]
	v_add_co_u32 v46, vcc_lo, v114, v46
	s_wait_alu 0xfffd
	v_add_co_ci_u32_e32 v47, vcc_lo, v115, v47, vcc_lo
	v_add_co_u32 v48, vcc_lo, v114, v48
	s_wait_alu 0xfffd
	v_add_co_ci_u32_e32 v49, vcc_lo, v115, v49, vcc_lo
	;; [unrolled: 3-line block ×3, first 2 shown]
	s_clause 0x9
	global_store_b128 v[65:66], v[4:7], off
	global_store_b128 v[71:72], v[20:23], off
	global_store_b128 v[86:87], v[24:27], off
	global_store_b128 v[88:89], v[28:31], off
	global_store_b128 v[42:43], v[32:35], off
	global_store_b128 v[40:41], v[0:3], off
	global_store_b128 v[44:45], v[36:39], off
	global_store_b128 v[46:47], v[12:15], off
	global_store_b128 v[48:49], v[8:11], off
	global_store_b128 v[50:51], v[16:19], off
.LBB0_15:
	s_nop 0
	s_sendmsg sendmsg(MSG_DEALLOC_VGPRS)
	s_endpgm
	.section	.rodata,"a",@progbits
	.p2align	6, 0x0
	.amdhsa_kernel fft_rtc_fwd_len2500_factors_10_5_10_5_wgs_250_tpt_250_halfLds_dp_op_CI_CI_sbrr_dirReg
		.amdhsa_group_segment_fixed_size 0
		.amdhsa_private_segment_fixed_size 0
		.amdhsa_kernarg_size 104
		.amdhsa_user_sgpr_count 2
		.amdhsa_user_sgpr_dispatch_ptr 0
		.amdhsa_user_sgpr_queue_ptr 0
		.amdhsa_user_sgpr_kernarg_segment_ptr 1
		.amdhsa_user_sgpr_dispatch_id 0
		.amdhsa_user_sgpr_private_segment_size 0
		.amdhsa_wavefront_size32 1
		.amdhsa_uses_dynamic_stack 0
		.amdhsa_enable_private_segment 0
		.amdhsa_system_sgpr_workgroup_id_x 1
		.amdhsa_system_sgpr_workgroup_id_y 0
		.amdhsa_system_sgpr_workgroup_id_z 0
		.amdhsa_system_sgpr_workgroup_info 0
		.amdhsa_system_vgpr_workitem_id 0
		.amdhsa_next_free_vgpr 116
		.amdhsa_next_free_sgpr 43
		.amdhsa_reserve_vcc 1
		.amdhsa_float_round_mode_32 0
		.amdhsa_float_round_mode_16_64 0
		.amdhsa_float_denorm_mode_32 3
		.amdhsa_float_denorm_mode_16_64 3
		.amdhsa_fp16_overflow 0
		.amdhsa_workgroup_processor_mode 1
		.amdhsa_memory_ordered 1
		.amdhsa_forward_progress 0
		.amdhsa_round_robin_scheduling 0
		.amdhsa_exception_fp_ieee_invalid_op 0
		.amdhsa_exception_fp_denorm_src 0
		.amdhsa_exception_fp_ieee_div_zero 0
		.amdhsa_exception_fp_ieee_overflow 0
		.amdhsa_exception_fp_ieee_underflow 0
		.amdhsa_exception_fp_ieee_inexact 0
		.amdhsa_exception_int_div_zero 0
	.end_amdhsa_kernel
	.text
.Lfunc_end0:
	.size	fft_rtc_fwd_len2500_factors_10_5_10_5_wgs_250_tpt_250_halfLds_dp_op_CI_CI_sbrr_dirReg, .Lfunc_end0-fft_rtc_fwd_len2500_factors_10_5_10_5_wgs_250_tpt_250_halfLds_dp_op_CI_CI_sbrr_dirReg
                                        ; -- End function
	.section	.AMDGPU.csdata,"",@progbits
; Kernel info:
; codeLenInByte = 9020
; NumSgprs: 45
; NumVgprs: 116
; ScratchSize: 0
; MemoryBound: 1
; FloatMode: 240
; IeeeMode: 1
; LDSByteSize: 0 bytes/workgroup (compile time only)
; SGPRBlocks: 5
; VGPRBlocks: 14
; NumSGPRsForWavesPerEU: 45
; NumVGPRsForWavesPerEU: 116
; Occupancy: 12
; WaveLimiterHint : 1
; COMPUTE_PGM_RSRC2:SCRATCH_EN: 0
; COMPUTE_PGM_RSRC2:USER_SGPR: 2
; COMPUTE_PGM_RSRC2:TRAP_HANDLER: 0
; COMPUTE_PGM_RSRC2:TGID_X_EN: 1
; COMPUTE_PGM_RSRC2:TGID_Y_EN: 0
; COMPUTE_PGM_RSRC2:TGID_Z_EN: 0
; COMPUTE_PGM_RSRC2:TIDIG_COMP_CNT: 0
	.text
	.p2alignl 7, 3214868480
	.fill 96, 4, 3214868480
	.type	__hip_cuid_f51f7ea0e4df1f62,@object ; @__hip_cuid_f51f7ea0e4df1f62
	.section	.bss,"aw",@nobits
	.globl	__hip_cuid_f51f7ea0e4df1f62
__hip_cuid_f51f7ea0e4df1f62:
	.byte	0                               ; 0x0
	.size	__hip_cuid_f51f7ea0e4df1f62, 1

	.ident	"AMD clang version 19.0.0git (https://github.com/RadeonOpenCompute/llvm-project roc-6.4.0 25133 c7fe45cf4b819c5991fe208aaa96edf142730f1d)"
	.section	".note.GNU-stack","",@progbits
	.addrsig
	.addrsig_sym __hip_cuid_f51f7ea0e4df1f62
	.amdgpu_metadata
---
amdhsa.kernels:
  - .args:
      - .actual_access:  read_only
        .address_space:  global
        .offset:         0
        .size:           8
        .value_kind:     global_buffer
      - .offset:         8
        .size:           8
        .value_kind:     by_value
      - .actual_access:  read_only
        .address_space:  global
        .offset:         16
        .size:           8
        .value_kind:     global_buffer
      - .actual_access:  read_only
        .address_space:  global
        .offset:         24
        .size:           8
        .value_kind:     global_buffer
      - .actual_access:  read_only
        .address_space:  global
        .offset:         32
        .size:           8
        .value_kind:     global_buffer
      - .offset:         40
        .size:           8
        .value_kind:     by_value
      - .actual_access:  read_only
        .address_space:  global
        .offset:         48
        .size:           8
        .value_kind:     global_buffer
      - .actual_access:  read_only
        .address_space:  global
        .offset:         56
        .size:           8
        .value_kind:     global_buffer
      - .offset:         64
        .size:           4
        .value_kind:     by_value
      - .actual_access:  read_only
        .address_space:  global
        .offset:         72
        .size:           8
        .value_kind:     global_buffer
      - .actual_access:  read_only
        .address_space:  global
        .offset:         80
        .size:           8
        .value_kind:     global_buffer
      - .actual_access:  read_only
        .address_space:  global
        .offset:         88
        .size:           8
        .value_kind:     global_buffer
      - .actual_access:  write_only
        .address_space:  global
        .offset:         96
        .size:           8
        .value_kind:     global_buffer
    .group_segment_fixed_size: 0
    .kernarg_segment_align: 8
    .kernarg_segment_size: 104
    .language:       OpenCL C
    .language_version:
      - 2
      - 0
    .max_flat_workgroup_size: 250
    .name:           fft_rtc_fwd_len2500_factors_10_5_10_5_wgs_250_tpt_250_halfLds_dp_op_CI_CI_sbrr_dirReg
    .private_segment_fixed_size: 0
    .sgpr_count:     45
    .sgpr_spill_count: 0
    .symbol:         fft_rtc_fwd_len2500_factors_10_5_10_5_wgs_250_tpt_250_halfLds_dp_op_CI_CI_sbrr_dirReg.kd
    .uniform_work_group_size: 1
    .uses_dynamic_stack: false
    .vgpr_count:     116
    .vgpr_spill_count: 0
    .wavefront_size: 32
    .workgroup_processor_mode: 1
amdhsa.target:   amdgcn-amd-amdhsa--gfx1201
amdhsa.version:
  - 1
  - 2
...

	.end_amdgpu_metadata
